;; amdgpu-corpus repo=ggml-org/llama.cpp kind=compiled arch=gfx906 opt=O3
	.amdgcn_target "amdgcn-amd-amdhsa--gfx906"
	.amdhsa_code_object_version 6
	.section	.text._ZL22timestep_embedding_f32PKfPfiii,"axG",@progbits,_ZL22timestep_embedding_f32PKfPfiii,comdat
	.globl	_ZL22timestep_embedding_f32PKfPfiii ; -- Begin function _ZL22timestep_embedding_f32PKfPfiii
	.p2align	8
	.type	_ZL22timestep_embedding_f32PKfPfiii,@function
_ZL22timestep_embedding_f32PKfPfiii:    ; @_ZL22timestep_embedding_f32PKfPfiii
; %bb.0:
	s_load_dword s1, s[4:5], 0x2c
	s_load_dwordx8 s[8:15], s[4:5], 0x0
	s_mov_b32 s0, s7
	s_waitcnt lgkmcnt(0)
	s_and_b32 s1, s1, 0xffff
	s_mul_i32 s6, s6, s1
	s_mul_i32 s1, s12, s7
	s_ashr_i32 s2, s1, 31
	s_add_u32 s12, s10, s1
	s_addc_u32 s11, s11, s2
	s_lshr_b32 s1, s13, 31
	s_add_i32 s1, s13, s1
	s_ashr_i32 s10, s1, 1
	v_add_u32_e32 v0, s6, v0
	s_bitcmp1_b32 s13, 0
	s_cselect_b64 s[2:3], -1, 0
	v_cmp_eq_u32_e32 vcc, s10, v0
	s_and_b64 s[4:5], s[2:3], vcc
	s_and_saveexec_b64 s[2:3], s[4:5]
	s_cbranch_execnz .LBB0_3
; %bb.1:
	s_or_b64 exec, exec, s[2:3]
	v_cmp_gt_i32_e32 vcc, s10, v0
	s_and_saveexec_b64 s[2:3], vcc
	s_cbranch_execnz .LBB0_4
.LBB0_2:
	s_endpgm
.LBB0_3:
	v_lshlrev_b32_e32 v1, 1, v0
	v_ashrrev_i32_e32 v2, 31, v1
	v_lshlrev_b64 v[1:2], 2, v[1:2]
	v_mov_b32_e32 v3, s11
	v_add_co_u32_e32 v1, vcc, s12, v1
	v_addc_co_u32_e32 v2, vcc, v3, v2, vcc
	v_mov_b32_e32 v3, 0
	global_store_dword v[1:2], v3, off
	s_or_b64 exec, exec, s[2:3]
	v_cmp_gt_i32_e32 vcc, s10, v0
	s_and_saveexec_b64 s[2:3], vcc
	s_cbranch_execz .LBB0_2
.LBB0_4:
	s_ashr_i32 s1, s0, 31
	s_lshl_b64 s[0:1], s[0:1], 2
	s_add_u32 s0, s8, s0
	s_addc_u32 s1, s9, s1
	v_mov_b32_e32 v2, 0
	global_load_dword v3, v2, s[0:1]
	v_cvt_f32_i32_e32 v1, s14
	s_mov_b32 s0, 0x800000
	v_mov_b32_e32 v4, 0x41b17218
	v_cvt_f32_i32_e32 v6, v0
	v_cmp_gt_f32_e32 vcc, s0, v1
	s_and_b64 s[0:1], vcc, exec
	s_cselect_b32 s0, 32, 0
	v_ldexp_f32 v1, v1, s0
	v_log_f32_e32 v1, v1
	s_mov_b32 s0, 0x3f317217
	v_cndmask_b32_e32 v4, 0, v4, vcc
	s_brev_b32 s2, 18
	v_mul_f32_e32 v5, 0x3f317217, v1
	v_fma_f32 v5, v1, s0, -v5
	v_fmac_f32_e32 v5, 0x3377d1cf, v1
	s_mov_b32 s0, 0x7f800000
	v_fmac_f32_e32 v5, 0x3f317217, v1
	v_cmp_lt_f32_e64 vcc, |v1|, s0
	v_cndmask_b32_e32 v1, v1, v5, vcc
	v_cvt_f32_i32_e32 v5, s10
	v_sub_f32_e32 v1, v1, v4
	v_mul_f32_e64 v1, -v1, v6
	v_div_scale_f32 v4, s[0:1], v5, v5, v1
	v_div_scale_f32 v6, vcc, v1, v5, v1
	s_mov_b32 s0, 0x3fb8aa3b
	s_mov_b32 s1, 0xc2ce8ed0
	v_rcp_f32_e32 v7, v4
	v_fma_f32 v8, -v4, v7, 1.0
	v_fmac_f32_e32 v7, v8, v7
	v_mul_f32_e32 v8, v6, v7
	v_fma_f32 v9, -v4, v8, v6
	v_fmac_f32_e32 v8, v9, v7
	v_fma_f32 v4, -v4, v8, v6
	v_div_fmas_f32 v4, v4, v7, v8
	v_div_fixup_f32 v1, v4, v5, v1
	v_mul_f32_e32 v4, 0x3fb8aa3b, v1
	v_fma_f32 v5, v1, s0, -v4
	v_rndne_f32_e32 v6, v4
	v_fmac_f32_e32 v5, 0x32a5705f, v1
	v_sub_f32_e32 v4, v4, v6
	v_add_f32_e32 v4, v4, v5
	v_cvt_i32_f32_e32 v6, v6
	v_exp_f32_e32 v4, v4
	s_mov_b32 s0, 0x42b17218
	v_cmp_ngt_f32_e32 vcc, s1, v1
	v_mov_b32_e32 v5, 0x7f800000
	v_ldexp_f32 v4, v4, v6
	v_cndmask_b32_e32 v4, 0, v4, vcc
	v_cmp_nlt_f32_e32 vcc, s0, v1
	v_cndmask_b32_e32 v1, v5, v4, vcc
	s_waitcnt vmcnt(0)
	v_mul_f32_e32 v3, v1, v3
	v_and_b32_e32 v4, 0x7fffffff, v3
	v_cmp_nlt_f32_e64 s[6:7], |v3|, s2
	v_lshrrev_b32_e32 v5, 23, v4
                                        ; implicit-def: $vgpr1
                                        ; implicit-def: $vgpr6
	s_and_saveexec_b64 s[0:1], s[6:7]
	s_xor_b64 s[8:9], exec, s[0:1]
	s_cbranch_execz .LBB0_6
; %bb.5:
	v_and_b32_e32 v1, 0x7fffff, v4
	v_or_b32_e32 v13, 0x800000, v1
	s_mov_b32 s0, 0xfe5163ab
	v_mad_u64_u32 v[6:7], s[0:1], v13, s0, 0
	s_mov_b32 s0, 0x3c439041
	v_add_u32_e32 v12, 0xffffff88, v5
	v_mov_b32_e32 v1, v7
	v_mad_u64_u32 v[7:8], s[0:1], v13, s0, v[1:2]
	s_mov_b32 s0, 0xdb629599
	v_not_b32_e32 v14, 63
	v_mov_b32_e32 v1, v8
	v_mad_u64_u32 v[8:9], s[0:1], v13, s0, v[1:2]
	s_mov_b32 s0, 0xf534ddc0
	v_cmp_lt_u32_e32 vcc, 63, v12
	v_mov_b32_e32 v1, v9
	v_mad_u64_u32 v[9:10], s[0:1], v13, s0, v[1:2]
	s_mov_b32 s0, 0xfc2757d1
	v_not_b32_e32 v15, 31
	v_mov_b32_e32 v1, v10
	v_mad_u64_u32 v[10:11], s[0:1], v13, s0, v[1:2]
	v_cndmask_b32_e32 v1, 0, v14, vcc
	v_add_u32_e32 v14, v1, v12
	v_mov_b32_e32 v1, v11
	s_mov_b32 s0, 0x4e441529
	v_mad_u64_u32 v[11:12], s[0:1], v13, s0, v[1:2]
	v_cmp_lt_u32_e64 s[0:1], 31, v14
	v_cndmask_b32_e64 v1, 0, v15, s[0:1]
	v_add_u32_e32 v14, v1, v14
	v_mov_b32_e32 v1, v12
	s_mov_b32 s2, 0xa2f9836e
	v_mad_u64_u32 v[1:2], s[2:3], v13, s2, v[1:2]
	v_cmp_lt_u32_e64 s[2:3], 31, v14
	v_cndmask_b32_e64 v12, 0, v15, s[2:3]
	v_cndmask_b32_e32 v13, v11, v9, vcc
	v_cndmask_b32_e32 v1, v1, v10, vcc
	v_cndmask_b32_e32 v2, v2, v11, vcc
	v_add_u32_e32 v12, v12, v14
	v_cndmask_b32_e64 v14, v1, v13, s[0:1]
	v_cndmask_b32_e64 v1, v2, v1, s[0:1]
	v_cndmask_b32_e32 v2, v10, v8, vcc
	v_cndmask_b32_e64 v10, v13, v2, s[0:1]
	v_cndmask_b32_e32 v7, v9, v7, vcc
	v_cndmask_b32_e64 v1, v1, v14, s[2:3]
	v_cndmask_b32_e64 v11, v14, v10, s[2:3]
	v_sub_u32_e32 v13, 32, v12
	v_cndmask_b32_e64 v2, v2, v7, s[0:1]
	v_alignbit_b32 v14, v1, v11, v13
	v_cmp_eq_u32_e64 s[4:5], 0, v12
	v_cndmask_b32_e64 v9, v10, v2, s[2:3]
	v_cndmask_b32_e64 v1, v14, v1, s[4:5]
	v_alignbit_b32 v10, v11, v9, v13
	v_cndmask_b32_e32 v6, v8, v6, vcc
	v_cndmask_b32_e64 v10, v10, v11, s[4:5]
	v_bfe_u32 v14, v1, 29, 1
	v_cndmask_b32_e64 v6, v7, v6, s[0:1]
	v_alignbit_b32 v11, v1, v10, 30
	v_sub_u32_e32 v15, 0, v14
	v_cndmask_b32_e64 v2, v2, v6, s[2:3]
	v_xor_b32_e32 v11, v11, v15
	v_alignbit_b32 v6, v9, v2, v13
	v_cndmask_b32_e64 v6, v6, v9, s[4:5]
	v_ffbh_u32_e32 v8, v11
	v_alignbit_b32 v7, v10, v6, 30
	v_min_u32_e32 v8, 32, v8
	v_alignbit_b32 v2, v6, v2, 30
	v_xor_b32_e32 v7, v7, v15
	v_sub_u32_e32 v9, 31, v8
	v_xor_b32_e32 v2, v2, v15
	v_alignbit_b32 v10, v11, v7, v9
	v_alignbit_b32 v2, v7, v2, v9
	;; [unrolled: 1-line block ×3, first 2 shown]
	v_ffbh_u32_e32 v7, v6
	v_min_u32_e32 v7, 32, v7
	v_lshrrev_b32_e32 v12, 29, v1
	v_not_b32_e32 v9, v7
	v_alignbit_b32 v2, v6, v2, v9
	v_lshlrev_b32_e32 v6, 31, v12
	v_or_b32_e32 v9, 0x33000000, v6
	v_add_lshl_u32 v7, v7, v8, 23
	v_lshrrev_b32_e32 v2, 9, v2
	v_sub_u32_e32 v7, v9, v7
	v_or_b32_e32 v6, 0.5, v6
	v_lshlrev_b32_e32 v8, 23, v8
	v_or_b32_e32 v2, v7, v2
	v_lshrrev_b32_e32 v7, 9, v10
	v_sub_u32_e32 v6, v6, v8
	v_or_b32_e32 v6, v7, v6
	s_mov_b32 s0, 0x3fc90fda
	v_mul_f32_e32 v7, 0x3fc90fda, v6
	v_fma_f32 v8, v6, s0, -v7
	v_fmac_f32_e32 v8, 0x33a22168, v6
	v_fmac_f32_e32 v8, 0x3fc90fda, v2
	v_lshrrev_b32_e32 v1, 30, v1
	v_add_f32_e32 v6, v7, v8
	v_add_u32_e32 v1, v14, v1
.LBB0_6:
	s_andn2_saveexec_b64 s[0:1], s[8:9]
	s_cbranch_execz .LBB0_8
; %bb.7:
	s_mov_b32 s2, 0x3f22f983
	v_mul_f32_e64 v1, |v3|, s2
	v_rndne_f32_e32 v2, v1
	s_mov_b32 s2, 0xbfc90fda
	v_cvt_i32_f32_e32 v1, v2
	v_fma_f32 v6, v2, s2, |v3|
	v_fmac_f32_e32 v6, 0xb3a22168, v2
	v_fmac_f32_e32 v6, 0xa7c234c4, v2
.LBB0_8:
	s_or_b64 exec, exec, s[0:1]
	v_mul_f32_e32 v2, v6, v6
	v_mov_b32_e32 v7, 0x3c0881c4
	v_fmac_f32_e32 v7, 0xb94c1982, v2
	v_mov_b32_e32 v8, 0xbe2aaa9d
	v_fmac_f32_e32 v8, v2, v7
	v_mul_f32_e32 v7, v2, v8
	v_fmac_f32_e32 v6, v6, v7
	v_mov_b32_e32 v7, 0xbab64f3b
	v_fmac_f32_e32 v7, 0x37d75334, v2
	v_mov_b32_e32 v8, 0x3d2aabf7
	;; [unrolled: 2-line block ×3, first 2 shown]
	v_fmac_f32_e32 v7, v2, v8
	v_fma_f32 v2, v2, v7, 1.0
	v_and_b32_e32 v7, 1, v1
	v_cmp_eq_u32_e32 vcc, 0, v7
	v_lshlrev_b32_e32 v1, 30, v1
	v_cndmask_b32_e64 v2, -v6, v2, vcc
	v_and_b32_e32 v1, 0x80000000, v1
	s_movk_i32 s0, 0x1f8
	v_xor_b32_e32 v1, v1, v2
	v_mov_b32_e32 v2, 0x7fc00000
	v_cmp_class_f32_e64 vcc, v3, s0
	v_cndmask_b32_e32 v2, v2, v1, vcc
	v_ashrrev_i32_e32 v1, 31, v0
	v_lshlrev_b64 v[0:1], 2, v[0:1]
	v_mov_b32_e32 v6, s11
	v_add_co_u32_e64 v0, s[0:1], s12, v0
	v_addc_co_u32_e64 v1, s[0:1], v6, v1, s[0:1]
	global_store_dword v[0:1], v2, off
                                        ; implicit-def: $vgpr2
                                        ; implicit-def: $vgpr6
	s_and_saveexec_b64 s[0:1], s[6:7]
	s_xor_b64 s[8:9], exec, s[0:1]
	s_cbranch_execz .LBB0_10
; %bb.9:
	v_and_b32_e32 v2, 0x7fffff, v4
	v_or_b32_e32 v2, 0x800000, v2
	s_mov_b32 s0, 0xfe5163ab
	v_mad_u64_u32 v[6:7], s[0:1], v2, s0, 0
	v_mov_b32_e32 v8, 0
	s_mov_b32 s0, 0x3c439041
	v_mad_u64_u32 v[9:10], s[0:1], v2, s0, v[7:8]
	s_mov_b32 s0, 0xdb629599
	v_add_u32_e32 v5, 0xffffff88, v5
	v_mov_b32_e32 v7, v10
	v_mad_u64_u32 v[10:11], s[0:1], v2, s0, v[7:8]
	s_mov_b32 s0, 0xf534ddc0
	v_not_b32_e32 v14, 63
	v_mov_b32_e32 v7, v11
	v_mad_u64_u32 v[11:12], s[0:1], v2, s0, v[7:8]
	s_mov_b32 s0, 0xfc2757d1
	s_mov_b32 s2, 0x4e441529
	v_mov_b32_e32 v7, v12
	v_mad_u64_u32 v[12:13], s[0:1], v2, s0, v[7:8]
	v_cmp_lt_u32_e64 s[0:1], 63, v5
	v_cndmask_b32_e64 v7, 0, v14, s[0:1]
	v_add_u32_e32 v5, v7, v5
	v_mov_b32_e32 v7, v13
	v_mad_u64_u32 v[13:14], s[2:3], v2, s2, v[7:8]
	v_not_b32_e32 v15, 31
	v_cmp_lt_u32_e64 s[2:3], 31, v5
	v_cndmask_b32_e64 v7, 0, v15, s[2:3]
	v_add_u32_e32 v5, v7, v5
	v_mov_b32_e32 v7, v14
	s_mov_b32 s4, 0xa2f9836e
	v_mad_u64_u32 v[7:8], s[4:5], v2, s4, v[7:8]
	v_cmp_lt_u32_e64 s[4:5], 31, v5
	v_cndmask_b32_e64 v2, 0, v15, s[4:5]
	v_add_u32_e32 v2, v2, v5
	v_cndmask_b32_e64 v5, v13, v11, s[0:1]
	v_cndmask_b32_e64 v7, v7, v12, s[0:1]
	v_cndmask_b32_e64 v8, v8, v13, s[0:1]
	v_cndmask_b32_e64 v14, v7, v5, s[2:3]
	v_cndmask_b32_e64 v7, v8, v7, s[2:3]
	v_cndmask_b32_e64 v8, v12, v10, s[0:1]
	v_cndmask_b32_e64 v5, v5, v8, s[2:3]
	v_cndmask_b32_e64 v7, v7, v14, s[4:5]
	v_cndmask_b32_e64 v12, v14, v5, s[4:5]
	v_sub_u32_e32 v13, 32, v2
	v_alignbit_b32 v14, v7, v12, v13
	v_cmp_eq_u32_e64 s[6:7], 0, v2
	v_cndmask_b32_e64 v2, v14, v7, s[6:7]
	v_cndmask_b32_e64 v7, v11, v9, s[0:1]
	;; [unrolled: 1-line block ×4, first 2 shown]
	v_alignbit_b32 v9, v12, v5, v13
	v_cndmask_b32_e64 v6, v10, v6, s[0:1]
	v_cndmask_b32_e64 v9, v9, v12, s[6:7]
	v_bfe_u32 v14, v2, 29, 1
	v_cndmask_b32_e64 v6, v7, v6, s[2:3]
	v_alignbit_b32 v11, v2, v9, 30
	v_sub_u32_e32 v15, 0, v14
	v_cndmask_b32_e64 v6, v8, v6, s[4:5]
	v_xor_b32_e32 v11, v11, v15
	v_alignbit_b32 v7, v5, v6, v13
	v_cndmask_b32_e64 v5, v7, v5, s[6:7]
	v_ffbh_u32_e32 v8, v11
	v_alignbit_b32 v7, v9, v5, 30
	v_min_u32_e32 v8, 32, v8
	v_alignbit_b32 v5, v5, v6, 30
	v_xor_b32_e32 v7, v7, v15
	v_sub_u32_e32 v9, 31, v8
	v_xor_b32_e32 v5, v5, v15
	v_alignbit_b32 v10, v11, v7, v9
	v_alignbit_b32 v5, v7, v5, v9
	;; [unrolled: 1-line block ×3, first 2 shown]
	v_ffbh_u32_e32 v7, v6
	v_min_u32_e32 v7, 32, v7
	v_lshrrev_b32_e32 v12, 29, v2
	v_not_b32_e32 v9, v7
	v_alignbit_b32 v5, v6, v5, v9
	v_lshlrev_b32_e32 v6, 31, v12
	v_or_b32_e32 v9, 0x33000000, v6
	v_add_lshl_u32 v7, v7, v8, 23
	v_lshrrev_b32_e32 v5, 9, v5
	v_sub_u32_e32 v7, v9, v7
	v_or_b32_e32 v6, 0.5, v6
	v_lshlrev_b32_e32 v8, 23, v8
	v_or_b32_e32 v5, v7, v5
	v_lshrrev_b32_e32 v7, 9, v10
	v_sub_u32_e32 v6, v6, v8
	v_or_b32_e32 v6, v7, v6
	s_mov_b32 s0, 0x3fc90fda
	v_mul_f32_e32 v7, 0x3fc90fda, v6
	v_fma_f32 v8, v6, s0, -v7
	v_fmac_f32_e32 v8, 0x33a22168, v6
	v_fmac_f32_e32 v8, 0x3fc90fda, v5
	v_lshrrev_b32_e32 v2, 30, v2
	v_add_f32_e32 v6, v7, v8
	v_add_u32_e32 v2, v14, v2
.LBB0_10:
	s_andn2_saveexec_b64 s[0:1], s[8:9]
	s_cbranch_execz .LBB0_12
; %bb.11:
	s_mov_b32 s2, 0x3f22f983
	v_mul_f32_e64 v2, |v3|, s2
	v_rndne_f32_e32 v5, v2
	s_mov_b32 s2, 0xbfc90fda
	v_cvt_i32_f32_e32 v2, v5
	v_fma_f32 v6, v5, s2, |v3|
	v_fmac_f32_e32 v6, 0xb3a22168, v5
	v_fmac_f32_e32 v6, 0xa7c234c4, v5
.LBB0_12:
	s_or_b64 exec, exec, s[0:1]
	v_mul_f32_e32 v5, v6, v6
	v_mov_b32_e32 v7, 0x3c0881c4
	v_fmac_f32_e32 v7, 0xb94c1982, v5
	v_mov_b32_e32 v8, 0xbe2aaa9d
	v_fmac_f32_e32 v8, v5, v7
	v_mul_f32_e32 v7, v5, v8
	v_fmac_f32_e32 v6, v6, v7
	v_mov_b32_e32 v7, 0xbab64f3b
	v_fmac_f32_e32 v7, 0x37d75334, v5
	v_mov_b32_e32 v8, 0x3d2aabf7
	;; [unrolled: 2-line block ×3, first 2 shown]
	v_fmac_f32_e32 v7, v5, v8
	v_fma_f32 v5, v5, v7, 1.0
	v_and_b32_e32 v7, 1, v2
	v_lshlrev_b32_e32 v2, 30, v2
	v_cmp_eq_u32_e64 s[0:1], 0, v7
	v_and_b32_e32 v2, 0x80000000, v2
	v_xor_b32_e32 v3, v4, v3
	v_cndmask_b32_e64 v5, v5, v6, s[0:1]
	v_xor_b32_e32 v2, v3, v2
	s_ashr_i32 s11, s10, 31
	v_xor_b32_e32 v2, v2, v5
	v_mov_b32_e32 v3, 0x7fc00000
	s_lshl_b64 s[0:1], s[10:11], 2
	v_cndmask_b32_e32 v2, v3, v2, vcc
	v_mov_b32_e32 v3, s1
	v_add_co_u32_e32 v0, vcc, s0, v0
	v_addc_co_u32_e32 v1, vcc, v1, v3, vcc
	global_store_dword v[0:1], v2, off
	s_endpgm
	.section	.rodata,"a",@progbits
	.p2align	6, 0x0
	.amdhsa_kernel _ZL22timestep_embedding_f32PKfPfiii
		.amdhsa_group_segment_fixed_size 0
		.amdhsa_private_segment_fixed_size 0
		.amdhsa_kernarg_size 288
		.amdhsa_user_sgpr_count 6
		.amdhsa_user_sgpr_private_segment_buffer 1
		.amdhsa_user_sgpr_dispatch_ptr 0
		.amdhsa_user_sgpr_queue_ptr 0
		.amdhsa_user_sgpr_kernarg_segment_ptr 1
		.amdhsa_user_sgpr_dispatch_id 0
		.amdhsa_user_sgpr_flat_scratch_init 0
		.amdhsa_user_sgpr_private_segment_size 0
		.amdhsa_uses_dynamic_stack 0
		.amdhsa_system_sgpr_private_segment_wavefront_offset 0
		.amdhsa_system_sgpr_workgroup_id_x 1
		.amdhsa_system_sgpr_workgroup_id_y 1
		.amdhsa_system_sgpr_workgroup_id_z 0
		.amdhsa_system_sgpr_workgroup_info 0
		.amdhsa_system_vgpr_workitem_id 0
		.amdhsa_next_free_vgpr 16
		.amdhsa_next_free_sgpr 16
		.amdhsa_reserve_vcc 1
		.amdhsa_reserve_flat_scratch 0
		.amdhsa_float_round_mode_32 0
		.amdhsa_float_round_mode_16_64 0
		.amdhsa_float_denorm_mode_32 3
		.amdhsa_float_denorm_mode_16_64 3
		.amdhsa_dx10_clamp 1
		.amdhsa_ieee_mode 1
		.amdhsa_fp16_overflow 0
		.amdhsa_exception_fp_ieee_invalid_op 0
		.amdhsa_exception_fp_denorm_src 0
		.amdhsa_exception_fp_ieee_div_zero 0
		.amdhsa_exception_fp_ieee_overflow 0
		.amdhsa_exception_fp_ieee_underflow 0
		.amdhsa_exception_fp_ieee_inexact 0
		.amdhsa_exception_int_div_zero 0
	.end_amdhsa_kernel
	.section	.text._ZL22timestep_embedding_f32PKfPfiii,"axG",@progbits,_ZL22timestep_embedding_f32PKfPfiii,comdat
.Lfunc_end0:
	.size	_ZL22timestep_embedding_f32PKfPfiii, .Lfunc_end0-_ZL22timestep_embedding_f32PKfPfiii
                                        ; -- End function
	.set _ZL22timestep_embedding_f32PKfPfiii.num_vgpr, 16
	.set _ZL22timestep_embedding_f32PKfPfiii.num_agpr, 0
	.set _ZL22timestep_embedding_f32PKfPfiii.numbered_sgpr, 16
	.set _ZL22timestep_embedding_f32PKfPfiii.num_named_barrier, 0
	.set _ZL22timestep_embedding_f32PKfPfiii.private_seg_size, 0
	.set _ZL22timestep_embedding_f32PKfPfiii.uses_vcc, 1
	.set _ZL22timestep_embedding_f32PKfPfiii.uses_flat_scratch, 0
	.set _ZL22timestep_embedding_f32PKfPfiii.has_dyn_sized_stack, 0
	.set _ZL22timestep_embedding_f32PKfPfiii.has_recursion, 0
	.set _ZL22timestep_embedding_f32PKfPfiii.has_indirect_call, 0
	.section	.AMDGPU.csdata,"",@progbits
; Kernel info:
; codeLenInByte = 2256
; TotalNumSgprs: 20
; NumVgprs: 16
; ScratchSize: 0
; MemoryBound: 0
; FloatMode: 240
; IeeeMode: 1
; LDSByteSize: 0 bytes/workgroup (compile time only)
; SGPRBlocks: 2
; VGPRBlocks: 3
; NumSGPRsForWavesPerEU: 20
; NumVGPRsForWavesPerEU: 16
; Occupancy: 10
; WaveLimiterHint : 0
; COMPUTE_PGM_RSRC2:SCRATCH_EN: 0
; COMPUTE_PGM_RSRC2:USER_SGPR: 6
; COMPUTE_PGM_RSRC2:TRAP_HANDLER: 0
; COMPUTE_PGM_RSRC2:TGID_X_EN: 1
; COMPUTE_PGM_RSRC2:TGID_Y_EN: 1
; COMPUTE_PGM_RSRC2:TGID_Z_EN: 0
; COMPUTE_PGM_RSRC2:TIDIG_COMP_CNT: 0
	.section	.AMDGPU.gpr_maximums,"",@progbits
	.set amdgpu.max_num_vgpr, 0
	.set amdgpu.max_num_agpr, 0
	.set amdgpu.max_num_sgpr, 0
	.section	.AMDGPU.csdata,"",@progbits
	.type	__hip_cuid_1f3eaaf11cbaba96,@object ; @__hip_cuid_1f3eaaf11cbaba96
	.section	.bss,"aw",@nobits
	.globl	__hip_cuid_1f3eaaf11cbaba96
__hip_cuid_1f3eaaf11cbaba96:
	.byte	0                               ; 0x0
	.size	__hip_cuid_1f3eaaf11cbaba96, 1

	.ident	"AMD clang version 22.0.0git (https://github.com/RadeonOpenCompute/llvm-project roc-7.2.4 26084 f58b06dce1f9c15707c5f808fd002e18c2accf7e)"
	.section	".note.GNU-stack","",@progbits
	.addrsig
	.addrsig_sym __hip_cuid_1f3eaaf11cbaba96
	.amdgpu_metadata
---
amdhsa.kernels:
  - .args:
      - .address_space:  global
        .offset:         0
        .size:           8
        .value_kind:     global_buffer
      - .address_space:  global
        .offset:         8
        .size:           8
        .value_kind:     global_buffer
      - .offset:         16
        .size:           4
        .value_kind:     by_value
      - .offset:         20
        .size:           4
        .value_kind:     by_value
      - .offset:         24
        .size:           4
        .value_kind:     by_value
      - .offset:         32
        .size:           4
        .value_kind:     hidden_block_count_x
      - .offset:         36
        .size:           4
        .value_kind:     hidden_block_count_y
      - .offset:         40
        .size:           4
        .value_kind:     hidden_block_count_z
      - .offset:         44
        .size:           2
        .value_kind:     hidden_group_size_x
      - .offset:         46
        .size:           2
        .value_kind:     hidden_group_size_y
      - .offset:         48
        .size:           2
        .value_kind:     hidden_group_size_z
      - .offset:         50
        .size:           2
        .value_kind:     hidden_remainder_x
      - .offset:         52
        .size:           2
        .value_kind:     hidden_remainder_y
      - .offset:         54
        .size:           2
        .value_kind:     hidden_remainder_z
      - .offset:         72
        .size:           8
        .value_kind:     hidden_global_offset_x
      - .offset:         80
        .size:           8
        .value_kind:     hidden_global_offset_y
      - .offset:         88
        .size:           8
        .value_kind:     hidden_global_offset_z
      - .offset:         96
        .size:           2
        .value_kind:     hidden_grid_dims
    .group_segment_fixed_size: 0
    .kernarg_segment_align: 8
    .kernarg_segment_size: 288
    .language:       OpenCL C
    .language_version:
      - 2
      - 0
    .max_flat_workgroup_size: 1024
    .name:           _ZL22timestep_embedding_f32PKfPfiii
    .private_segment_fixed_size: 0
    .sgpr_count:     20
    .sgpr_spill_count: 0
    .symbol:         _ZL22timestep_embedding_f32PKfPfiii.kd
    .uniform_work_group_size: 1
    .uses_dynamic_stack: false
    .vgpr_count:     16
    .vgpr_spill_count: 0
    .wavefront_size: 64
amdhsa.target:   amdgcn-amd-amdhsa--gfx906
amdhsa.version:
  - 1
  - 2
...

	.end_amdgpu_metadata
